;; amdgpu-corpus repo=ROCm/rocFFT kind=compiled arch=gfx906 opt=O3
	.text
	.amdgcn_target "amdgcn-amd-amdhsa--gfx906"
	.amdhsa_code_object_version 6
	.protected	fft_rtc_back_len1372_factors_2_2_7_7_7_wgs_196_tpt_98_halfLds_half_ip_CI_unitstride_sbrr_dirReg ; -- Begin function fft_rtc_back_len1372_factors_2_2_7_7_7_wgs_196_tpt_98_halfLds_half_ip_CI_unitstride_sbrr_dirReg
	.globl	fft_rtc_back_len1372_factors_2_2_7_7_7_wgs_196_tpt_98_halfLds_half_ip_CI_unitstride_sbrr_dirReg
	.p2align	8
	.type	fft_rtc_back_len1372_factors_2_2_7_7_7_wgs_196_tpt_98_halfLds_half_ip_CI_unitstride_sbrr_dirReg,@function
fft_rtc_back_len1372_factors_2_2_7_7_7_wgs_196_tpt_98_halfLds_half_ip_CI_unitstride_sbrr_dirReg: ; @fft_rtc_back_len1372_factors_2_2_7_7_7_wgs_196_tpt_98_halfLds_half_ip_CI_unitstride_sbrr_dirReg
; %bb.0:
	s_load_dwordx2 s[2:3], s[4:5], 0x50
	s_load_dwordx4 s[8:11], s[4:5], 0x0
	s_load_dwordx2 s[12:13], s[4:5], 0x18
	v_mul_u32_u24_e32 v1, 0x29d, v0
	v_lshrrev_b32_e32 v9, 16, v1
	v_mov_b32_e32 v3, 0
	s_waitcnt lgkmcnt(0)
	v_cmp_lt_u64_e64 s[0:1], s[10:11], 2
	v_mov_b32_e32 v1, 0
	v_lshl_add_u32 v5, s6, 1, v9
	v_mov_b32_e32 v6, v3
	s_and_b64 vcc, exec, s[0:1]
	v_mov_b32_e32 v2, 0
	s_cbranch_vccnz .LBB0_8
; %bb.1:
	s_load_dwordx2 s[0:1], s[4:5], 0x10
	s_add_u32 s6, s12, 8
	s_addc_u32 s7, s13, 0
	v_mov_b32_e32 v1, 0
	v_mov_b32_e32 v2, 0
	s_waitcnt lgkmcnt(0)
	s_add_u32 s14, s0, 8
	s_addc_u32 s15, s1, 0
	s_mov_b64 s[16:17], 1
.LBB0_2:                                ; =>This Inner Loop Header: Depth=1
	s_load_dwordx2 s[18:19], s[14:15], 0x0
                                        ; implicit-def: $vgpr7_vgpr8
	s_waitcnt lgkmcnt(0)
	v_or_b32_e32 v4, s19, v6
	v_cmp_ne_u64_e32 vcc, 0, v[3:4]
	s_and_saveexec_b64 s[0:1], vcc
	s_xor_b64 s[20:21], exec, s[0:1]
	s_cbranch_execz .LBB0_4
; %bb.3:                                ;   in Loop: Header=BB0_2 Depth=1
	v_cvt_f32_u32_e32 v4, s18
	v_cvt_f32_u32_e32 v7, s19
	s_sub_u32 s0, 0, s18
	s_subb_u32 s1, 0, s19
	v_mac_f32_e32 v4, 0x4f800000, v7
	v_rcp_f32_e32 v4, v4
	v_mul_f32_e32 v4, 0x5f7ffffc, v4
	v_mul_f32_e32 v7, 0x2f800000, v4
	v_trunc_f32_e32 v7, v7
	v_mac_f32_e32 v4, 0xcf800000, v7
	v_cvt_u32_f32_e32 v7, v7
	v_cvt_u32_f32_e32 v4, v4
	v_mul_lo_u32 v8, s0, v7
	v_mul_hi_u32 v10, s0, v4
	v_mul_lo_u32 v12, s1, v4
	v_mul_lo_u32 v11, s0, v4
	v_add_u32_e32 v8, v10, v8
	v_add_u32_e32 v8, v8, v12
	v_mul_hi_u32 v10, v4, v11
	v_mul_lo_u32 v12, v4, v8
	v_mul_hi_u32 v14, v4, v8
	v_mul_hi_u32 v13, v7, v11
	v_mul_lo_u32 v11, v7, v11
	v_mul_hi_u32 v15, v7, v8
	v_add_co_u32_e32 v10, vcc, v10, v12
	v_addc_co_u32_e32 v12, vcc, 0, v14, vcc
	v_mul_lo_u32 v8, v7, v8
	v_add_co_u32_e32 v10, vcc, v10, v11
	v_addc_co_u32_e32 v10, vcc, v12, v13, vcc
	v_addc_co_u32_e32 v11, vcc, 0, v15, vcc
	v_add_co_u32_e32 v8, vcc, v10, v8
	v_addc_co_u32_e32 v10, vcc, 0, v11, vcc
	v_add_co_u32_e32 v4, vcc, v4, v8
	v_addc_co_u32_e32 v7, vcc, v7, v10, vcc
	v_mul_lo_u32 v8, s0, v7
	v_mul_hi_u32 v10, s0, v4
	v_mul_lo_u32 v11, s1, v4
	v_mul_lo_u32 v12, s0, v4
	v_add_u32_e32 v8, v10, v8
	v_add_u32_e32 v8, v8, v11
	v_mul_lo_u32 v13, v4, v8
	v_mul_hi_u32 v14, v4, v12
	v_mul_hi_u32 v15, v4, v8
	;; [unrolled: 1-line block ×3, first 2 shown]
	v_mul_lo_u32 v12, v7, v12
	v_mul_hi_u32 v10, v7, v8
	v_add_co_u32_e32 v13, vcc, v14, v13
	v_addc_co_u32_e32 v14, vcc, 0, v15, vcc
	v_mul_lo_u32 v8, v7, v8
	v_add_co_u32_e32 v12, vcc, v13, v12
	v_addc_co_u32_e32 v11, vcc, v14, v11, vcc
	v_addc_co_u32_e32 v10, vcc, 0, v10, vcc
	v_add_co_u32_e32 v8, vcc, v11, v8
	v_addc_co_u32_e32 v10, vcc, 0, v10, vcc
	v_add_co_u32_e32 v4, vcc, v4, v8
	v_addc_co_u32_e32 v10, vcc, v7, v10, vcc
	v_mad_u64_u32 v[7:8], s[0:1], v5, v10, 0
	v_mul_hi_u32 v11, v5, v4
	v_add_co_u32_e32 v12, vcc, v11, v7
	v_addc_co_u32_e32 v13, vcc, 0, v8, vcc
	v_mad_u64_u32 v[7:8], s[0:1], v6, v4, 0
	v_mad_u64_u32 v[10:11], s[0:1], v6, v10, 0
	v_add_co_u32_e32 v4, vcc, v12, v7
	v_addc_co_u32_e32 v4, vcc, v13, v8, vcc
	v_addc_co_u32_e32 v7, vcc, 0, v11, vcc
	v_add_co_u32_e32 v4, vcc, v4, v10
	v_addc_co_u32_e32 v10, vcc, 0, v7, vcc
	v_mul_lo_u32 v11, s19, v4
	v_mul_lo_u32 v12, s18, v10
	v_mad_u64_u32 v[7:8], s[0:1], s18, v4, 0
	v_add3_u32 v8, v8, v12, v11
	v_sub_u32_e32 v11, v6, v8
	v_mov_b32_e32 v12, s19
	v_sub_co_u32_e32 v7, vcc, v5, v7
	v_subb_co_u32_e64 v11, s[0:1], v11, v12, vcc
	v_subrev_co_u32_e64 v12, s[0:1], s18, v7
	v_subbrev_co_u32_e64 v11, s[0:1], 0, v11, s[0:1]
	v_cmp_le_u32_e64 s[0:1], s19, v11
	v_cndmask_b32_e64 v13, 0, -1, s[0:1]
	v_cmp_le_u32_e64 s[0:1], s18, v12
	v_cndmask_b32_e64 v12, 0, -1, s[0:1]
	v_cmp_eq_u32_e64 s[0:1], s19, v11
	v_cndmask_b32_e64 v11, v13, v12, s[0:1]
	v_add_co_u32_e64 v12, s[0:1], 2, v4
	v_addc_co_u32_e64 v13, s[0:1], 0, v10, s[0:1]
	v_add_co_u32_e64 v14, s[0:1], 1, v4
	v_addc_co_u32_e64 v15, s[0:1], 0, v10, s[0:1]
	v_subb_co_u32_e32 v8, vcc, v6, v8, vcc
	v_cmp_ne_u32_e64 s[0:1], 0, v11
	v_cmp_le_u32_e32 vcc, s19, v8
	v_cndmask_b32_e64 v11, v15, v13, s[0:1]
	v_cndmask_b32_e64 v13, 0, -1, vcc
	v_cmp_le_u32_e32 vcc, s18, v7
	v_cndmask_b32_e64 v7, 0, -1, vcc
	v_cmp_eq_u32_e32 vcc, s19, v8
	v_cndmask_b32_e32 v7, v13, v7, vcc
	v_cmp_ne_u32_e32 vcc, 0, v7
	v_cndmask_b32_e64 v7, v14, v12, s[0:1]
	v_cndmask_b32_e32 v8, v10, v11, vcc
	v_cndmask_b32_e32 v7, v4, v7, vcc
.LBB0_4:                                ;   in Loop: Header=BB0_2 Depth=1
	s_andn2_saveexec_b64 s[0:1], s[20:21]
	s_cbranch_execz .LBB0_6
; %bb.5:                                ;   in Loop: Header=BB0_2 Depth=1
	v_cvt_f32_u32_e32 v4, s18
	s_sub_i32 s20, 0, s18
	v_rcp_iflag_f32_e32 v4, v4
	v_mul_f32_e32 v4, 0x4f7ffffe, v4
	v_cvt_u32_f32_e32 v4, v4
	v_mul_lo_u32 v7, s20, v4
	v_mul_hi_u32 v7, v4, v7
	v_add_u32_e32 v4, v4, v7
	v_mul_hi_u32 v4, v5, v4
	v_mul_lo_u32 v7, v4, s18
	v_add_u32_e32 v8, 1, v4
	v_sub_u32_e32 v7, v5, v7
	v_subrev_u32_e32 v10, s18, v7
	v_cmp_le_u32_e32 vcc, s18, v7
	v_cndmask_b32_e32 v7, v7, v10, vcc
	v_cndmask_b32_e32 v4, v4, v8, vcc
	v_add_u32_e32 v8, 1, v4
	v_cmp_le_u32_e32 vcc, s18, v7
	v_cndmask_b32_e32 v7, v4, v8, vcc
	v_mov_b32_e32 v8, v3
.LBB0_6:                                ;   in Loop: Header=BB0_2 Depth=1
	s_or_b64 exec, exec, s[0:1]
	v_mul_lo_u32 v4, v8, s18
	v_mul_lo_u32 v12, v7, s19
	v_mad_u64_u32 v[10:11], s[0:1], v7, s18, 0
	s_load_dwordx2 s[0:1], s[6:7], 0x0
	s_add_u32 s16, s16, 1
	v_add3_u32 v4, v11, v12, v4
	v_sub_co_u32_e32 v5, vcc, v5, v10
	v_subb_co_u32_e32 v4, vcc, v6, v4, vcc
	s_waitcnt lgkmcnt(0)
	v_mul_lo_u32 v4, s0, v4
	v_mul_lo_u32 v6, s1, v5
	v_mad_u64_u32 v[1:2], s[0:1], s0, v5, v[1:2]
	s_addc_u32 s17, s17, 0
	s_add_u32 s6, s6, 8
	v_add3_u32 v2, v6, v2, v4
	v_mov_b32_e32 v4, s10
	v_mov_b32_e32 v5, s11
	s_addc_u32 s7, s7, 0
	v_cmp_ge_u64_e32 vcc, s[16:17], v[4:5]
	s_add_u32 s14, s14, 8
	s_addc_u32 s15, s15, 0
	s_cbranch_vccnz .LBB0_9
; %bb.7:                                ;   in Loop: Header=BB0_2 Depth=1
	v_mov_b32_e32 v5, v7
	v_mov_b32_e32 v6, v8
	s_branch .LBB0_2
.LBB0_8:
	v_mov_b32_e32 v8, v6
	v_mov_b32_e32 v7, v5
.LBB0_9:
	s_lshl_b64 s[0:1], s[10:11], 3
	s_add_u32 s0, s12, s0
	s_addc_u32 s1, s13, s1
	s_load_dwordx2 s[6:7], s[0:1], 0x0
	s_load_dwordx2 s[10:11], s[4:5], 0x20
	v_mov_b32_e32 v13, 0
	v_mov_b32_e32 v12, 0
	;; [unrolled: 1-line block ×3, first 2 shown]
	s_waitcnt lgkmcnt(0)
	v_mad_u64_u32 v[2:3], s[0:1], s6, v7, v[1:2]
	v_mul_lo_u32 v4, s6, v8
	v_mul_lo_u32 v5, s7, v7
	s_mov_b32 s0, 0x29cbc15
	v_mul_hi_u32 v1, v0, s0
	v_cmp_gt_u64_e32 vcc, s[10:11], v[7:8]
	v_add3_u32 v3, v5, v3, v4
	v_lshlrev_b64 v[2:3], 2, v[2:3]
	v_mul_u32_u24_e32 v1, 0x62, v1
	v_sub_u32_e32 v0, v0, v1
	v_mov_b32_e32 v1, 0
	v_mov_b32_e32 v8, 0
	;; [unrolled: 1-line block ×4, first 2 shown]
                                        ; implicit-def: $vgpr5
                                        ; implicit-def: $vgpr6
                                        ; implicit-def: $vgpr20
                                        ; implicit-def: $vgpr4
                                        ; implicit-def: $vgpr19
                                        ; implicit-def: $vgpr25
                                        ; implicit-def: $vgpr18
                                        ; implicit-def: $vgpr24
                                        ; implicit-def: $vgpr17
                                        ; implicit-def: $vgpr23
                                        ; implicit-def: $vgpr16
                                        ; implicit-def: $vgpr22
                                        ; implicit-def: $vgpr15
                                        ; implicit-def: $vgpr21
	s_and_saveexec_b64 s[4:5], vcc
	s_cbranch_execz .LBB0_11
; %bb.10:
	v_mov_b32_e32 v1, 0
	v_mov_b32_e32 v4, s3
	v_add_co_u32_e64 v6, s[0:1], s2, v2
	v_addc_co_u32_e64 v7, s[0:1], v4, v3, s[0:1]
	v_lshlrev_b64 v[4:5], 2, v[0:1]
	v_add_co_u32_e64 v15, s[0:1], v6, v4
	v_addc_co_u32_e64 v16, s[0:1], v7, v5, s[0:1]
	s_movk_i32 s0, 0x1000
	global_load_dword v6, v[15:16], off offset:2744
	v_add_co_u32_e64 v17, s[0:1], s0, v15
	v_addc_co_u32_e64 v18, s[0:1], 0, v16, s[0:1]
	global_load_dword v1, v[15:16], off
	global_load_dword v13, v[15:16], off offset:392
	global_load_dword v12, v[15:16], off offset:784
	;; [unrolled: 1-line block ×12, first 2 shown]
	s_waitcnt vmcnt(6)
	v_lshrrev_b32_e32 v20, 16, v4
	v_lshrrev_b32_e32 v5, 16, v6
	s_waitcnt vmcnt(5)
	v_lshrrev_b32_e32 v19, 16, v25
	s_waitcnt vmcnt(4)
	;; [unrolled: 2-line block ×5, first 2 shown]
	v_lshrrev_b32_e32 v15, 16, v21
.LBB0_11:
	s_or_b64 exec, exec, s[4:5]
	v_sub_f16_e32 v6, v1, v6
	v_fma_f16 v7, v1, 2.0, -v6
	v_pack_b32_f16 v26, v7, v6
	v_and_b32_e32 v6, 1, v9
	v_mov_b32_e32 v7, 0xab8
	v_cmp_eq_u32_e64 s[0:1], 1, v6
	v_cndmask_b32_e64 v6, 0, v7, s[0:1]
	v_add_u32_e32 v7, 0, v6
	v_lshl_add_u32 v9, v0, 2, v7
	v_sub_f16_e32 v4, v13, v4
	ds_write_b32 v9, v26
	v_fma_f16 v26, v13, 2.0, -v4
	v_pack_b32_f16 v26, v26, v4
	v_add_u32_e32 v4, 0x62, v0
	v_lshl_add_u32 v27, v4, 2, v7
	v_sub_f16_e32 v25, v12, v25
	ds_write_b32 v27, v26
	v_fma_f16 v26, v12, 2.0, -v25
	v_pack_b32_f16 v25, v26, v25
	;; [unrolled: 6-line block ×5, first 2 shown]
	v_add_u32_e32 v23, 0x1ea, v0
	v_lshl_add_u32 v31, v23, 2, v7
	s_waitcnt vmcnt(0)
	v_sub_f16_e32 v21, v14, v21
	ds_write_b32 v31, v22
	v_fma_f16 v22, v14, 2.0, -v21
	v_lshrrev_b32_e32 v1, 16, v1
	v_pack_b32_f16 v21, v22, v21
	v_add_u32_e32 v22, 0x24c, v0
	v_sub_f16_e32 v5, v1, v5
	v_lshl_add_u32 v32, v22, 2, v7
	v_fma_f16 v1, v1, 2.0, -v5
	v_lshlrev_b32_e32 v33, 1, v0
	ds_write_b32 v32, v21
	v_pack_b32_f16 v21, v1, v5
	v_add_u32_e32 v1, v7, v33
	s_waitcnt lgkmcnt(0)
	s_barrier
	v_add3_u32 v5, 0, v33, v6
	ds_read_u16 v34, v1
	ds_read_u16 v35, v5 offset:196
	ds_read_u16 v36, v5 offset:392
	;; [unrolled: 1-line block ×13, first 2 shown]
	s_waitcnt lgkmcnt(0)
	s_barrier
	ds_write_b32 v9, v21
	v_lshrrev_b32_e32 v9, 16, v13
	v_sub_f16_e32 v13, v9, v20
	v_fma_f16 v9, v9, 2.0, -v13
	v_pack_b32_f16 v9, v9, v13
	ds_write_b32 v27, v9
	v_lshrrev_b32_e32 v9, 16, v12
	v_sub_f16_e32 v12, v9, v19
	v_fma_f16 v9, v9, 2.0, -v12
	v_pack_b32_f16 v9, v9, v12
	;; [unrolled: 5-line block ×3, first 2 shown]
	v_lshrrev_b32_e32 v8, 16, v8
	ds_write_b32 v29, v9
	v_sub_f16_e32 v9, v8, v17
	v_fma_f16 v8, v8, 2.0, -v9
	v_pack_b32_f16 v8, v8, v9
	ds_write_b32 v30, v8
	v_lshrrev_b32_e32 v8, 16, v11
	v_sub_f16_e32 v9, v8, v16
	v_fma_f16 v8, v8, 2.0, -v9
	v_pack_b32_f16 v8, v8, v9
	ds_write_b32 v31, v8
	v_lshrrev_b32_e32 v8, 16, v14
	v_sub_f16_e32 v9, v8, v15
	v_fma_f16 v8, v8, 2.0, -v9
	v_pack_b32_f16 v8, v8, v9
	ds_write_b32 v32, v8
	v_and_b32_e32 v8, 1, v0
	v_lshlrev_b32_e32 v9, 2, v8
	s_waitcnt lgkmcnt(0)
	s_barrier
	global_load_dword v9, v9, s[8:9]
	ds_read_u16 v10, v5 offset:1372
	ds_read_u16 v11, v5 offset:1176
	s_movk_i32 s0, 0xfc
	v_and_or_b32 v33, v33, s0, v8
	v_lshl_add_u32 v33, v33, 1, v7
	s_movk_i32 s0, 0x1fc
	v_lshlrev_b32_e32 v22, 1, v22
	s_movk_i32 s12, 0x2b26
	s_mov_b32 s1, 0xb9e0
	s_mov_b32 s4, 0xbb00
	;; [unrolled: 1-line block ×3, first 2 shown]
	s_movk_i32 s7, 0x3574
	s_mov_b32 s6, 0xbcab
	s_mov_b32 s10, 0xb70e
	s_movk_i32 s11, 0x188
	s_waitcnt vmcnt(0)
	v_mul_f16_sdwa v13, v40, v9 dst_sel:DWORD dst_unused:UNUSED_PAD src0_sel:DWORD src1_sel:WORD_1
	s_waitcnt lgkmcnt(1)
	v_mul_f16_sdwa v12, v10, v9 dst_sel:DWORD dst_unused:UNUSED_PAD src0_sel:DWORD src1_sel:WORD_1
	v_fma_f16 v10, v10, v9, -v13
	ds_read_u16 v13, v5 offset:1568
	ds_read_u16 v14, v5 offset:1764
	;; [unrolled: 1-line block ×6, first 2 shown]
	v_fma_f16 v12, v40, v9, v12
	v_mul_f16_sdwa v20, v42, v9 dst_sel:DWORD dst_unused:UNUSED_PAD src0_sel:DWORD src1_sel:WORD_1
	v_mul_f16_sdwa v21, v43, v9 dst_sel:DWORD dst_unused:UNUSED_PAD src0_sel:DWORD src1_sel:WORD_1
	;; [unrolled: 1-line block ×5, first 2 shown]
	s_waitcnt lgkmcnt(5)
	v_mul_f16_sdwa v19, v13, v9 dst_sel:DWORD dst_unused:UNUSED_PAD src0_sel:DWORD src1_sel:WORD_1
	v_fma_f16 v13, v13, v9, -v20
	s_waitcnt lgkmcnt(4)
	v_mul_f16_sdwa v20, v14, v9 dst_sel:DWORD dst_unused:UNUSED_PAD src0_sel:DWORD src1_sel:WORD_1
	v_fma_f16 v14, v14, v9, -v21
	;; [unrolled: 3-line block ×5, first 2 shown]
	s_waitcnt lgkmcnt(0)
	v_mul_f16_sdwa v29, v18, v9 dst_sel:DWORD dst_unused:UNUSED_PAD src0_sel:DWORD src1_sel:WORD_1
	v_mul_f16_sdwa v30, v47, v9 dst_sel:DWORD dst_unused:UNUSED_PAD src0_sel:DWORD src1_sel:WORD_1
	v_sub_f16_e32 v12, v34, v12
	v_fma_f16 v19, v42, v9, v19
	v_fma_f16 v20, v43, v9, v20
	;; [unrolled: 1-line block ×6, first 2 shown]
	v_fma_f16 v9, v18, v9, -v30
	v_fma_f16 v18, v34, 2.0, -v12
	ds_read_u16 v30, v1
	ds_read_u16 v31, v5 offset:196
	ds_read_u16 v32, v5 offset:392
	;; [unrolled: 1-line block ×5, first 2 shown]
	s_waitcnt lgkmcnt(0)
	s_barrier
	ds_write_b16 v33, v18
	ds_write_b16 v33, v12 offset:4
	v_sub_f16_e32 v12, v35, v19
	v_lshlrev_b32_e32 v19, 1, v4
	v_and_or_b32 v19, v19, s0, v8
	v_fma_f16 v18, v35, 2.0, -v12
	v_lshl_add_u32 v19, v19, 1, v7
	ds_write_b16 v19, v18
	ds_write_b16 v19, v12 offset:4
	v_lshlrev_b32_e32 v12, 1, v26
	s_movk_i32 s0, 0x3fc
	v_sub_f16_e32 v18, v36, v20
	v_and_or_b32 v12, v12, s0, v8
	v_fma_f16 v20, v36, 2.0, -v18
	v_lshl_add_u32 v12, v12, 1, v7
	ds_write_b16 v12, v20
	ds_write_b16 v12, v18 offset:4
	v_lshlrev_b32_e32 v18, 1, v25
	v_sub_f16_e32 v20, v37, v21
	v_and_or_b32 v18, v18, s0, v8
	v_fma_f16 v21, v37, 2.0, -v20
	v_lshl_add_u32 v18, v18, 1, v7
	ds_write_b16 v18, v21
	ds_write_b16 v18, v20 offset:4
	v_lshlrev_b32_e32 v20, 1, v24
	s_movk_i32 s0, 0x7fc
	v_sub_f16_e32 v21, v38, v27
	v_and_or_b32 v20, v20, s0, v8
	v_fma_f16 v24, v38, 2.0, -v21
	v_lshl_add_u32 v20, v20, 1, v7
	ds_write_b16 v20, v24
	ds_write_b16 v20, v21 offset:4
	v_lshlrev_b32_e32 v21, 1, v23
	v_sub_f16_e32 v23, v39, v28
	v_and_or_b32 v21, v21, s0, v8
	s_movk_i32 s0, 0x5fc
	v_fma_f16 v24, v39, 2.0, -v23
	v_lshl_add_u32 v21, v21, 1, v7
	v_and_or_b32 v8, v22, s0, v8
	v_sub_f16_e32 v22, v41, v29
	ds_write_b16 v21, v24
	ds_write_b16 v21, v23 offset:4
	v_fma_f16 v23, v41, 2.0, -v22
	v_lshl_add_u32 v8, v8, 1, v7
	v_sub_f16_e32 v10, v30, v10
	ds_write_b16 v8, v23
	ds_write_b16 v8, v22 offset:4
	v_fma_f16 v22, v30, 2.0, -v10
	s_waitcnt lgkmcnt(0)
	s_barrier
	ds_read_u16 v23, v1
	ds_read_u16 v24, v5 offset:1568
	ds_read_u16 v25, v5 offset:1372
	;; [unrolled: 1-line block ×13, first 2 shown]
	s_waitcnt lgkmcnt(0)
	s_barrier
	ds_write_b16 v33, v22
	ds_write_b16 v33, v10 offset:4
	v_sub_f16_e32 v10, v31, v13
	v_fma_f16 v13, v31, 2.0, -v10
	ds_write_b16 v19, v13
	ds_write_b16 v19, v10 offset:4
	v_sub_f16_e32 v10, v32, v14
	v_fma_f16 v13, v32, 2.0, -v10
	;; [unrolled: 4-line block ×5, first 2 shown]
	v_sub_f16_e32 v9, v11, v9
	ds_write_b16 v21, v12
	ds_write_b16 v21, v10 offset:4
	v_fma_f16 v10, v11, 2.0, -v9
	v_and_b32_e32 v20, 3, v0
	ds_write_b16 v8, v10
	ds_write_b16 v8, v9 offset:4
	v_mul_u32_u24_e32 v8, 6, v20
	v_lshlrev_b32_e32 v21, 2, v8
	s_waitcnt lgkmcnt(0)
	s_barrier
	global_load_dwordx4 v[8:11], v21, s[8:9] offset:8
	v_and_b32_e32 v22, 3, v4
	v_mul_u32_u24_e32 v12, 6, v22
	v_lshlrev_b32_e32 v31, 2, v12
	global_load_dwordx4 v[12:15], v31, s[8:9] offset:8
	global_load_dwordx2 v[16:17], v21, s[8:9] offset:24
	global_load_dwordx2 v[18:19], v31, s[8:9] offset:24
	ds_read_u16 v21, v5 offset:1176
	ds_read_u16 v31, v5 offset:784
	;; [unrolled: 1-line block ×4, first 2 shown]
	s_movk_i32 s0, 0x39e0
	s_waitcnt vmcnt(3) lgkmcnt(1)
	v_mul_f16_sdwa v34, v32, v8 dst_sel:DWORD dst_unused:UNUSED_PAD src0_sel:DWORD src1_sel:WORD_1
	v_fma_f16 v34, v30, v8, v34
	v_mul_f16_sdwa v30, v30, v8 dst_sel:DWORD dst_unused:UNUSED_PAD src0_sel:DWORD src1_sel:WORD_1
	v_fma_f16 v8, v32, v8, -v30
	v_mul_f16_sdwa v30, v31, v9 dst_sel:DWORD dst_unused:UNUSED_PAD src0_sel:DWORD src1_sel:WORD_1
	v_fma_f16 v30, v28, v9, v30
	v_mul_f16_sdwa v28, v28, v9 dst_sel:DWORD dst_unused:UNUSED_PAD src0_sel:DWORD src1_sel:WORD_1
	v_fma_f16 v9, v31, v9, -v28
	ds_read_u16 v31, v5 offset:1568
	v_mul_f16_sdwa v28, v21, v10 dst_sel:DWORD dst_unused:UNUSED_PAD src0_sel:DWORD src1_sel:WORD_1
	v_fma_f16 v28, v26, v10, v28
	v_mul_f16_sdwa v26, v26, v10 dst_sel:DWORD dst_unused:UNUSED_PAD src0_sel:DWORD src1_sel:WORD_1
	v_fma_f16 v10, v21, v10, -v26
	s_waitcnt lgkmcnt(0)
	v_mul_f16_sdwa v40, v31, v11 dst_sel:DWORD dst_unused:UNUSED_PAD src0_sel:DWORD src1_sel:WORD_1
	v_fma_f16 v40, v24, v11, v40
	v_mul_f16_sdwa v24, v24, v11 dst_sel:DWORD dst_unused:UNUSED_PAD src0_sel:DWORD src1_sel:WORD_1
	ds_read_u16 v21, v5 offset:1764
	ds_read_u16 v26, v5 offset:2352
	;; [unrolled: 1-line block ×3, first 2 shown]
	v_fma_f16 v11, v31, v11, -v24
	ds_read_u16 v24, v5 offset:588
	ds_read_u16 v31, v5 offset:980
	;; [unrolled: 1-line block ×4, first 2 shown]
	s_waitcnt vmcnt(2) lgkmcnt(3)
	v_mul_f16_sdwa v44, v24, v12 dst_sel:DWORD dst_unused:UNUSED_PAD src0_sel:DWORD src1_sel:WORD_1
	v_fma_f16 v44, v29, v12, v44
	v_mul_f16_sdwa v29, v29, v12 dst_sel:DWORD dst_unused:UNUSED_PAD src0_sel:DWORD src1_sel:WORD_1
	v_fma_f16 v12, v24, v12, -v29
	s_waitcnt lgkmcnt(2)
	v_mul_f16_sdwa v24, v31, v13 dst_sel:DWORD dst_unused:UNUSED_PAD src0_sel:DWORD src1_sel:WORD_1
	v_fma_f16 v24, v27, v13, v24
	v_mul_f16_sdwa v27, v27, v13 dst_sel:DWORD dst_unused:UNUSED_PAD src0_sel:DWORD src1_sel:WORD_1
	v_fma_f16 v13, v31, v13, -v27
	s_waitcnt lgkmcnt(0)
	v_mul_f16_sdwa v27, v43, v14 dst_sel:DWORD dst_unused:UNUSED_PAD src0_sel:DWORD src1_sel:WORD_1
	v_fma_f16 v27, v25, v14, v27
	v_mul_f16_sdwa v25, v25, v14 dst_sel:DWORD dst_unused:UNUSED_PAD src0_sel:DWORD src1_sel:WORD_1
	v_fma_f16 v14, v43, v14, -v25
	v_mul_f16_sdwa v25, v21, v15 dst_sel:DWORD dst_unused:UNUSED_PAD src0_sel:DWORD src1_sel:WORD_1
	v_mul_f16_sdwa v29, v41, v15 dst_sel:DWORD dst_unused:UNUSED_PAD src0_sel:DWORD src1_sel:WORD_1
	v_fma_f16 v25, v41, v15, v25
	v_fma_f16 v15, v21, v15, -v29
	ds_read_u16 v21, v5 offset:2548
	s_waitcnt vmcnt(1)
	v_mul_f16_sdwa v29, v32, v16 dst_sel:DWORD dst_unused:UNUSED_PAD src0_sel:DWORD src1_sel:WORD_1
	v_mul_f16_sdwa v31, v39, v16 dst_sel:DWORD dst_unused:UNUSED_PAD src0_sel:DWORD src1_sel:WORD_1
	v_fma_f16 v29, v39, v16, v29
	v_fma_f16 v16, v32, v16, -v31
	v_mul_f16_sdwa v31, v26, v17 dst_sel:DWORD dst_unused:UNUSED_PAD src0_sel:DWORD src1_sel:WORD_1
	v_mul_f16_sdwa v32, v37, v17 dst_sel:DWORD dst_unused:UNUSED_PAD src0_sel:DWORD src1_sel:WORD_1
	v_fma_f16 v31, v37, v17, v31
	v_fma_f16 v17, v26, v17, -v32
	s_waitcnt vmcnt(0)
	v_mul_f16_sdwa v26, v42, v18 dst_sel:DWORD dst_unused:UNUSED_PAD src0_sel:DWORD src1_sel:WORD_1
	v_mul_f16_sdwa v32, v38, v18 dst_sel:DWORD dst_unused:UNUSED_PAD src0_sel:DWORD src1_sel:WORD_1
	v_fma_f16 v26, v38, v18, v26
	v_fma_f16 v18, v42, v18, -v32
	s_waitcnt lgkmcnt(0)
	v_mul_f16_sdwa v32, v21, v19 dst_sel:DWORD dst_unused:UNUSED_PAD src0_sel:DWORD src1_sel:WORD_1
	v_fma_f16 v32, v36, v19, v32
	v_mul_f16_sdwa v36, v36, v19 dst_sel:DWORD dst_unused:UNUSED_PAD src0_sel:DWORD src1_sel:WORD_1
	v_fma_f16 v19, v21, v19, -v36
	v_add_f16_e32 v21, v34, v31
	v_sub_f16_e32 v31, v34, v31
	v_add_f16_e32 v34, v8, v17
	v_sub_f16_e32 v8, v8, v17
	;; [unrolled: 2-line block ×4, first 2 shown]
	v_add_f16_e32 v16, v28, v40
	v_add_f16_e32 v36, v10, v11
	v_sub_f16_e32 v10, v11, v10
	v_add_f16_e32 v11, v17, v21
	v_sub_f16_e32 v28, v40, v28
	v_sub_f16_e32 v37, v17, v21
	;; [unrolled: 1-line block ×4, first 2 shown]
	v_add_f16_e32 v11, v16, v11
	v_add_f16_e32 v16, v30, v34
	v_sub_f16_e32 v38, v30, v34
	v_sub_f16_e32 v34, v34, v36
	v_sub_f16_e32 v30, v36, v30
	v_add_f16_e32 v16, v36, v16
	v_add_f16_e32 v36, v28, v29
	v_sub_f16_e32 v39, v28, v29
	v_sub_f16_e32 v28, v31, v28
	v_sub_f16_e32 v29, v29, v31
	;; [unrolled: 5-line block ×3, first 2 shown]
	v_add_f16_e32 v8, v36, v8
	v_mul_f16_e32 v21, 0x3a52, v21
	v_mul_f16_e32 v36, 0x2b26, v17
	v_fma_f16 v17, v17, s12, v21
	v_fma_f16 v36, v37, s0, -v36
	v_fma_f16 v21, v37, s1, -v21
	v_mul_f16_e32 v34, 0x3a52, v34
	v_mul_f16_e32 v37, 0x2b26, v30
	v_fma_f16 v30, v30, s12, v34
	v_fma_f16 v37, v38, s0, -v37
	v_fma_f16 v34, v38, s1, -v34
	v_mul_f16_e32 v38, 0x3846, v39
	v_mul_f16_e32 v39, 0xbb00, v29
	v_fma_f16 v29, v29, s4, -v38
	v_fma_f16 v38, v28, s5, v38
	v_fma_f16 v28, v28, s7, -v39
	v_mul_f16_e32 v39, 0x3846, v40
	v_mul_f16_e32 v40, 0xbb00, v9
	v_fma_f16 v9, v9, s4, -v39
	v_fma_f16 v39, v10, s5, v39
	v_fma_f16 v10, v10, s7, -v40
	ds_read_u16 v40, v1
	v_add_f16_e32 v23, v23, v11
	v_fma_f16 v11, v11, s6, v23
	v_add_f16_e32 v17, v17, v11
	v_add_f16_e32 v36, v36, v11
	;; [unrolled: 1-line block ×3, first 2 shown]
	s_waitcnt lgkmcnt(0)
	v_add_f16_e32 v21, v40, v16
	v_fma_f16 v16, v16, s6, v21
	v_add_f16_e32 v30, v30, v16
	v_add_f16_e32 v37, v37, v16
	v_add_f16_e32 v16, v34, v16
	v_fma_f16 v34, v31, s10, v38
	v_fma_f16 v29, v31, s10, v29
	;; [unrolled: 1-line block ×6, first 2 shown]
	v_sub_f16_e32 v10, v36, v9
	v_add_f16_e32 v9, v9, v36
	v_add_f16_e32 v36, v29, v37
	v_sub_f16_e32 v29, v37, v29
	v_add_f16_e32 v37, v8, v11
	v_sub_f16_e32 v8, v11, v8
	v_sub_f16_e32 v11, v16, v28
	v_add_f16_e32 v16, v28, v16
	v_add_f16_e32 v28, v31, v17
	v_sub_f16_e32 v17, v17, v31
	v_sub_f16_e32 v31, v30, v34
	v_add_f16_e32 v30, v34, v30
	v_add_f16_e32 v34, v44, v32
	;; [unrolled: 1-line block ×5, first 2 shown]
	v_sub_f16_e32 v42, v13, v18
	v_sub_f16_e32 v43, v15, v14
	;; [unrolled: 1-line block ×5, first 2 shown]
	v_add_f16_e32 v39, v39, v40
	v_sub_f16_e32 v40, v12, v19
	v_add_f16_e32 v45, v43, v42
	v_sub_f16_e32 v46, v43, v42
	v_sub_f16_e32 v43, v40, v43
	;; [unrolled: 1-line block ×3, first 2 shown]
	v_add_f16_e32 v40, v45, v40
	v_mul_f16_e32 v34, 0x3a52, v34
	v_mul_f16_e32 v45, 0x2b26, v38
	v_fma_f16 v38, v38, s12, v34
	v_fma_f16 v45, v41, s0, -v45
	v_fma_f16 v34, v41, s1, -v34
	v_mul_f16_e32 v41, 0x3846, v46
	v_mul_f16_e32 v46, 0xbb00, v42
	v_add_f16_e32 v35, v35, v39
	v_fma_f16 v42, v42, s4, -v41
	v_fma_f16 v41, v43, s5, v41
	v_fma_f16 v43, v43, s7, -v46
	v_fma_f16 v39, v39, s6, v35
	v_add_f16_e32 v38, v38, v39
	v_add_f16_e32 v45, v45, v39
	;; [unrolled: 1-line block ×3, first 2 shown]
	v_fma_f16 v39, v40, s10, v41
	v_fma_f16 v41, v40, s10, v42
	;; [unrolled: 1-line block ×3, first 2 shown]
	v_add_f16_e32 v43, v40, v34
	v_sub_f16_e32 v34, v34, v40
	v_add_f16_e32 v40, v39, v38
	v_sub_f16_e32 v38, v38, v39
	v_lshrrev_b32_e32 v39, 2, v0
	v_mul_u32_u24_e32 v39, 28, v39
	v_or_b32_e32 v20, v39, v20
	v_lshl_add_u32 v20, v20, 1, v7
	s_barrier
	ds_write_b16 v20, v23
	ds_write_b16 v20, v28 offset:8
	ds_write_b16 v20, v37 offset:16
	;; [unrolled: 1-line block ×6, first 2 shown]
	v_lshrrev_b32_e32 v8, 2, v4
	v_mul_u32_u24_e32 v8, 28, v8
	v_or_b32_e32 v8, v8, v22
	v_sub_f16_e32 v42, v45, v41
	v_add_f16_e32 v41, v41, v45
	v_lshl_add_u32 v8, v8, 1, v7
	ds_write_b16 v8, v35
	ds_write_b16 v8, v40 offset:8
	ds_write_b16 v8, v43 offset:16
	;; [unrolled: 1-line block ×6, first 2 shown]
	s_waitcnt lgkmcnt(0)
	s_barrier
	ds_read_u16 v22, v1
	ds_read_u16 v23, v5 offset:1568
	ds_read_u16 v28, v5 offset:1372
	;; [unrolled: 1-line block ×13, first 2 shown]
	s_waitcnt lgkmcnt(0)
	s_barrier
	ds_write_b16 v20, v21
	ds_write_b16 v20, v31 offset:8
	ds_write_b16 v20, v11 offset:16
	;; [unrolled: 1-line block ×6, first 2 shown]
	v_add_f16_e32 v9, v12, v19
	v_add_f16_e32 v11, v13, v18
	v_sub_f16_e32 v12, v24, v26
	v_add_f16_e32 v13, v14, v15
	v_sub_f16_e32 v14, v25, v27
	;; [unrolled: 2-line block ×3, first 2 shown]
	v_sub_f16_e32 v16, v11, v9
	v_sub_f16_e32 v9, v9, v13
	;; [unrolled: 1-line block ×3, first 2 shown]
	v_add_f16_e32 v13, v13, v15
	v_add_f16_e32 v15, v14, v12
	v_sub_f16_e32 v17, v14, v12
	v_sub_f16_e32 v14, v10, v14
	;; [unrolled: 1-line block ×3, first 2 shown]
	v_add_f16_e32 v10, v15, v10
	v_mul_f16_e32 v9, 0x3a52, v9
	v_mul_f16_e32 v15, 0x2b26, v11
	v_fma_f16 v11, v11, s12, v9
	v_fma_f16 v15, v16, s0, -v15
	v_fma_f16 v9, v16, s1, -v9
	v_mul_f16_e32 v16, 0x3846, v17
	v_mul_f16_e32 v17, 0xbb00, v12
	v_fma_f16 v12, v12, s4, -v16
	v_fma_f16 v16, v14, s5, v16
	v_fma_f16 v14, v14, s7, -v17
	v_add_f16_e32 v17, v33, v13
	v_fma_f16 v13, v13, s6, v17
	v_add_f16_e32 v11, v11, v13
	v_add_f16_e32 v15, v15, v13
	;; [unrolled: 1-line block ×3, first 2 shown]
	v_fma_f16 v13, v10, s10, v16
	v_fma_f16 v12, v10, s10, v12
	;; [unrolled: 1-line block ×3, first 2 shown]
	v_add_f16_e32 v14, v12, v15
	v_sub_f16_e32 v12, v15, v12
	v_sub_f16_e32 v15, v9, v10
	v_add_f16_e32 v9, v10, v9
	v_sub_f16_e32 v10, v11, v13
	v_add_f16_e32 v11, v13, v11
	ds_write_b16 v8, v17
	ds_write_b16 v8, v10 offset:8
	ds_write_b16 v8, v15 offset:16
	ds_write_b16 v8, v14 offset:24
	ds_write_b16 v8, v12 offset:32
	ds_write_b16 v8, v9 offset:40
	ds_write_b16 v8, v11 offset:48
	v_lshrrev_b16_e32 v8, 2, v0
	v_and_b32_e32 v8, 63, v8
	v_mul_lo_u16_e32 v8, 37, v8
	v_lshrrev_b16_e32 v18, 8, v8
	v_mul_lo_u16_e32 v8, 28, v18
	v_sub_u16_e32 v19, v0, v8
	v_mov_b32_e32 v12, 6
	v_mul_u32_u24_sdwa v8, v19, v12 dst_sel:DWORD dst_unused:UNUSED_PAD src0_sel:BYTE_0 src1_sel:DWORD
	v_lshlrev_b32_e32 v16, 2, v8
	s_waitcnt lgkmcnt(0)
	s_barrier
	global_load_dwordx4 v[8:11], v16, s[8:9] offset:104
	v_lshrrev_b16_e32 v13, 2, v4
	v_and_b32_e32 v13, 63, v13
	v_mul_lo_u16_e32 v13, 37, v13
	v_lshrrev_b16_e32 v24, 8, v13
	v_mul_lo_u16_e32 v13, 28, v24
	ds_read_u16 v20, v5 offset:1176
	ds_read_u16 v21, v5 offset:784
	v_sub_u16_e32 v25, v4, v13
	ds_read_u16 v27, v5 offset:392
	ds_read_u16 v29, v5 offset:196
	v_mul_u32_u24_sdwa v12, v25, v12 dst_sel:DWORD dst_unused:UNUSED_PAD src0_sel:BYTE_0 src1_sel:DWORD
	v_lshlrev_b32_e32 v26, 2, v12
	global_load_dwordx4 v[12:15], v26, s[8:9] offset:104
	s_waitcnt vmcnt(1) lgkmcnt(1)
	v_mul_f16_sdwa v30, v27, v8 dst_sel:DWORD dst_unused:UNUSED_PAD src0_sel:DWORD src1_sel:WORD_1
	global_load_dwordx2 v[16:17], v16, s[8:9] offset:120
	v_mul_f16_sdwa v31, v39, v8 dst_sel:DWORD dst_unused:UNUSED_PAD src0_sel:DWORD src1_sel:WORD_1
	v_fma_f16 v30, v39, v8, v30
	v_fma_f16 v27, v27, v8, -v31
	v_mul_f16_sdwa v8, v21, v9 dst_sel:DWORD dst_unused:UNUSED_PAD src0_sel:DWORD src1_sel:WORD_1
	v_fma_f16 v31, v37, v9, v8
	v_mul_f16_sdwa v8, v37, v9 dst_sel:DWORD dst_unused:UNUSED_PAD src0_sel:DWORD src1_sel:WORD_1
	v_fma_f16 v21, v21, v9, -v8
	ds_read_u16 v9, v5 offset:1568
	v_mul_f16_sdwa v8, v20, v10 dst_sel:DWORD dst_unused:UNUSED_PAD src0_sel:DWORD src1_sel:WORD_1
	v_fma_f16 v32, v34, v10, v8
	v_mul_f16_sdwa v8, v34, v10 dst_sel:DWORD dst_unused:UNUSED_PAD src0_sel:DWORD src1_sel:WORD_1
	v_fma_f16 v10, v20, v10, -v8
	s_waitcnt lgkmcnt(0)
	v_mul_f16_sdwa v8, v9, v11 dst_sel:DWORD dst_unused:UNUSED_PAD src0_sel:DWORD src1_sel:WORD_1
	v_fma_f16 v36, v23, v11, v8
	v_mul_f16_sdwa v8, v23, v11 dst_sel:DWORD dst_unused:UNUSED_PAD src0_sel:DWORD src1_sel:WORD_1
	ds_read_u16 v20, v5 offset:1764
	ds_read_u16 v33, v5 offset:2352
	ds_read_u16 v34, v5 offset:1960
	v_fma_f16 v11, v9, v11, -v8
	global_load_dwordx2 v[8:9], v26, s[8:9] offset:120
	ds_read_u16 v23, v5 offset:588
	ds_read_u16 v26, v5 offset:980
	ds_read_u16 v37, v5 offset:1372
	s_waitcnt vmcnt(2) lgkmcnt(2)
	v_mul_f16_sdwa v39, v23, v12 dst_sel:DWORD dst_unused:UNUSED_PAD src0_sel:DWORD src1_sel:WORD_1
	v_fma_f16 v39, v38, v12, v39
	v_mul_f16_sdwa v38, v38, v12 dst_sel:DWORD dst_unused:UNUSED_PAD src0_sel:DWORD src1_sel:WORD_1
	v_fma_f16 v23, v23, v12, -v38
	s_waitcnt lgkmcnt(1)
	v_mul_f16_sdwa v12, v26, v13 dst_sel:DWORD dst_unused:UNUSED_PAD src0_sel:DWORD src1_sel:WORD_1
	v_fma_f16 v38, v35, v13, v12
	v_mul_f16_sdwa v12, v35, v13 dst_sel:DWORD dst_unused:UNUSED_PAD src0_sel:DWORD src1_sel:WORD_1
	v_fma_f16 v26, v26, v13, -v12
	s_waitcnt lgkmcnt(0)
	v_mul_f16_sdwa v12, v37, v14 dst_sel:DWORD dst_unused:UNUSED_PAD src0_sel:DWORD src1_sel:WORD_1
	v_fma_f16 v35, v28, v14, v12
	v_mul_f16_sdwa v12, v28, v14 dst_sel:DWORD dst_unused:UNUSED_PAD src0_sel:DWORD src1_sel:WORD_1
	v_fma_f16 v28, v37, v14, -v12
	v_mul_f16_sdwa v12, v20, v15 dst_sel:DWORD dst_unused:UNUSED_PAD src0_sel:DWORD src1_sel:WORD_1
	v_fma_f16 v37, v45, v15, v12
	v_mul_f16_sdwa v12, v45, v15 dst_sel:DWORD dst_unused:UNUSED_PAD src0_sel:DWORD src1_sel:WORD_1
	v_fma_f16 v20, v20, v15, -v12
	ds_read_u16 v12, v5 offset:2156
	ds_read_u16 v13, v5 offset:2548
	s_waitcnt vmcnt(1)
	v_mul_f16_sdwa v14, v34, v16 dst_sel:DWORD dst_unused:UNUSED_PAD src0_sel:DWORD src1_sel:WORD_1
	v_mul_f16_sdwa v15, v43, v16 dst_sel:DWORD dst_unused:UNUSED_PAD src0_sel:DWORD src1_sel:WORD_1
	v_fma_f16 v14, v43, v16, v14
	v_fma_f16 v15, v34, v16, -v15
	v_mul_f16_sdwa v16, v33, v17 dst_sel:DWORD dst_unused:UNUSED_PAD src0_sel:DWORD src1_sel:WORD_1
	v_mul_f16_sdwa v34, v41, v17 dst_sel:DWORD dst_unused:UNUSED_PAD src0_sel:DWORD src1_sel:WORD_1
	v_fma_f16 v16, v41, v17, v16
	v_fma_f16 v17, v33, v17, -v34
	s_waitcnt vmcnt(0) lgkmcnt(1)
	v_mul_f16_sdwa v33, v12, v8 dst_sel:DWORD dst_unused:UNUSED_PAD src0_sel:DWORD src1_sel:WORD_1
	v_mul_f16_sdwa v34, v42, v8 dst_sel:DWORD dst_unused:UNUSED_PAD src0_sel:DWORD src1_sel:WORD_1
	v_fma_f16 v33, v42, v8, v33
	v_fma_f16 v34, v12, v8, -v34
	s_waitcnt lgkmcnt(0)
	v_mul_f16_sdwa v8, v13, v9 dst_sel:DWORD dst_unused:UNUSED_PAD src0_sel:DWORD src1_sel:WORD_1
	v_fma_f16 v41, v40, v9, v8
	v_mul_f16_sdwa v8, v40, v9 dst_sel:DWORD dst_unused:UNUSED_PAD src0_sel:DWORD src1_sel:WORD_1
	v_fma_f16 v40, v13, v9, -v8
	v_mov_b32_e32 v9, 1
	v_mad_u32_u24 v8, v18, s11, 0
	v_lshlrev_b32_sdwa v12, v9, v19 dst_sel:DWORD dst_unused:UNUSED_PAD src0_sel:DWORD src1_sel:BYTE_0
	v_add3_u32 v42, v8, v12, v6
	v_lshlrev_b32_sdwa v8, v9, v25 dst_sel:DWORD dst_unused:UNUSED_PAD src0_sel:DWORD src1_sel:BYTE_0
	v_mad_u32_u24 v9, v24, s11, 0
	v_add3_u32 v24, v9, v8, v6
	v_add_f16_e32 v6, v30, v16
	v_add_f16_e32 v13, v31, v14
	v_sub_f16_e32 v8, v30, v16
	v_add_f16_e32 v9, v27, v17
	v_sub_f16_e32 v12, v27, v17
	v_add_f16_e32 v16, v21, v15
	v_add_f16_e32 v17, v32, v36
	;; [unrolled: 1-line block ×3, first 2 shown]
	v_sub_f16_e32 v10, v11, v10
	v_add_f16_e32 v11, v13, v6
	v_sub_f16_e32 v14, v31, v14
	v_sub_f16_e32 v15, v21, v15
	;; [unrolled: 1-line block ×6, first 2 shown]
	v_add_f16_e32 v11, v17, v11
	v_add_f16_e32 v17, v16, v9
	v_sub_f16_e32 v25, v16, v9
	v_sub_f16_e32 v9, v9, v19
	v_sub_f16_e32 v16, v19, v16
	v_add_f16_e32 v17, v19, v17
	v_add_f16_e32 v19, v18, v14
	v_sub_f16_e32 v27, v18, v14
	v_sub_f16_e32 v18, v8, v18
	v_sub_f16_e32 v14, v14, v8
	;; [unrolled: 5-line block ×3, first 2 shown]
	v_add_f16_e32 v12, v19, v12
	v_mul_f16_e32 v6, 0x3a52, v6
	v_mul_f16_e32 v19, 0x2b26, v13
	v_fma_f16 v13, v13, s12, v6
	v_fma_f16 v19, v21, s0, -v19
	v_fma_f16 v6, v21, s1, -v6
	v_mul_f16_e32 v9, 0x3a52, v9
	v_mul_f16_e32 v21, 0x2b26, v16
	v_fma_f16 v16, v16, s12, v9
	v_fma_f16 v21, v25, s0, -v21
	v_fma_f16 v9, v25, s1, -v9
	v_mul_f16_e32 v25, 0x3846, v27
	v_mul_f16_e32 v27, 0xbb00, v14
	v_fma_f16 v14, v14, s4, -v25
	v_fma_f16 v25, v18, s5, v25
	v_fma_f16 v18, v18, s7, -v27
	v_mul_f16_e32 v27, 0x3846, v30
	v_mul_f16_e32 v30, 0xbb00, v15
	v_fma_f16 v15, v15, s4, -v27
	v_fma_f16 v27, v10, s5, v27
	v_fma_f16 v10, v10, s7, -v30
	ds_read_u16 v30, v1
	v_add_f16_e32 v22, v22, v11
	v_fma_f16 v11, v11, s6, v22
	v_add_f16_e32 v13, v13, v11
	v_add_f16_e32 v19, v19, v11
	s_waitcnt lgkmcnt(0)
	v_add_f16_e32 v30, v30, v17
	v_add_f16_e32 v6, v6, v11
	v_fma_f16 v11, v17, s6, v30
	v_add_f16_e32 v16, v16, v11
	v_add_f16_e32 v17, v21, v11
	;; [unrolled: 1-line block ×3, first 2 shown]
	v_fma_f16 v11, v8, s10, v25
	v_fma_f16 v14, v8, s10, v14
	;; [unrolled: 1-line block ×6, first 2 shown]
	v_add_f16_e32 v21, v14, v17
	v_sub_f16_e32 v25, v17, v14
	v_add_f16_e32 v14, v10, v6
	v_sub_f16_e32 v6, v6, v10
	v_sub_f16_e32 v32, v16, v11
	v_add_f16_e32 v36, v11, v16
	v_add_f16_e32 v10, v39, v41
	v_add_f16_e32 v11, v38, v33
	v_sub_f16_e32 v12, v19, v15
	v_add_f16_e32 v15, v15, v19
	v_sub_f16_e32 v27, v9, v8
	v_add_f16_e32 v31, v8, v9
	v_add_f16_e32 v8, v18, v13
	v_sub_f16_e32 v9, v13, v18
	v_add_f16_e32 v13, v35, v37
	v_add_f16_e32 v16, v11, v10
	v_sub_f16_e32 v18, v26, v34
	v_sub_f16_e32 v19, v20, v28
	;; [unrolled: 1-line block ×5, first 2 shown]
	v_add_f16_e32 v13, v13, v16
	v_sub_f16_e32 v16, v23, v40
	v_add_f16_e32 v43, v19, v18
	v_sub_f16_e32 v44, v19, v18
	v_sub_f16_e32 v19, v16, v19
	;; [unrolled: 1-line block ×3, first 2 shown]
	v_add_f16_e32 v16, v43, v16
	v_mul_f16_e32 v10, 0x3a52, v10
	v_mul_f16_e32 v43, 0x2b26, v11
	v_fma_f16 v11, v11, s12, v10
	v_fma_f16 v43, v17, s0, -v43
	v_fma_f16 v10, v17, s1, -v10
	v_mul_f16_e32 v17, 0x3846, v44
	v_mul_f16_e32 v44, 0xbb00, v18
	v_add_f16_e32 v7, v7, v13
	v_fma_f16 v18, v18, s4, -v17
	v_fma_f16 v17, v19, s5, v17
	v_fma_f16 v19, v19, s7, -v44
	v_fma_f16 v13, v13, s6, v7
	v_add_f16_e32 v11, v11, v13
	v_add_f16_e32 v43, v43, v13
	;; [unrolled: 1-line block ×3, first 2 shown]
	v_fma_f16 v13, v16, s10, v17
	v_fma_f16 v17, v16, s10, v18
	;; [unrolled: 1-line block ×3, first 2 shown]
	v_sub_f16_e32 v18, v43, v17
	v_add_f16_e32 v17, v17, v43
	v_add_f16_e32 v19, v16, v10
	v_sub_f16_e32 v10, v10, v16
	v_add_f16_e32 v16, v13, v11
	v_sub_f16_e32 v11, v11, v13
	s_barrier
	ds_write_b16 v42, v22
	ds_write_b16 v42, v8 offset:56
	ds_write_b16 v42, v14 offset:112
	ds_write_b16 v42, v12 offset:168
	ds_write_b16 v42, v15 offset:224
	ds_write_b16 v42, v6 offset:280
	ds_write_b16 v42, v9 offset:336
	ds_write_b16 v24, v7
	ds_write_b16 v24, v16 offset:56
	ds_write_b16 v24, v19 offset:112
	;; [unrolled: 1-line block ×6, first 2 shown]
	s_waitcnt lgkmcnt(0)
	s_barrier
	ds_read_u16 v6, v1
	ds_read_u16 v12, v5 offset:1568
	ds_read_u16 v17, v5 offset:1372
	;; [unrolled: 1-line block ×13, first 2 shown]
	s_waitcnt lgkmcnt(0)
	s_barrier
	ds_write_b16 v42, v30
	ds_write_b16 v42, v32 offset:56
	ds_write_b16 v42, v27 offset:112
	ds_write_b16 v42, v21 offset:168
	ds_write_b16 v42, v25 offset:224
	ds_write_b16 v42, v31 offset:280
	ds_write_b16 v42, v36 offset:336
	v_add_f16_e32 v21, v23, v40
	v_add_f16_e32 v23, v26, v34
	v_sub_f16_e32 v25, v38, v33
	v_add_f16_e32 v20, v28, v20
	v_sub_f16_e32 v26, v37, v35
	;; [unrolled: 2-line block ×3, first 2 shown]
	v_sub_f16_e32 v28, v23, v21
	v_sub_f16_e32 v21, v21, v20
	;; [unrolled: 1-line block ×3, first 2 shown]
	v_add_f16_e32 v20, v20, v27
	v_add_f16_e32 v27, v26, v25
	v_sub_f16_e32 v30, v26, v25
	v_sub_f16_e32 v26, v22, v26
	;; [unrolled: 1-line block ×3, first 2 shown]
	v_add_f16_e32 v22, v27, v22
	v_mul_f16_e32 v21, 0x3a52, v21
	v_mul_f16_e32 v27, 0x2b26, v23
	v_fma_f16 v23, v23, s12, v21
	v_fma_f16 v27, v28, s0, -v27
	v_fma_f16 v21, v28, s1, -v21
	v_mul_f16_e32 v28, 0x3846, v30
	v_add_f16_e32 v29, v29, v20
	v_mul_f16_e32 v30, 0xbb00, v25
	v_fma_f16 v25, v25, s4, -v28
	v_fma_f16 v20, v20, s6, v29
	v_fma_f16 v28, v26, s5, v28
	v_fma_f16 v26, v26, s7, -v30
	v_add_f16_e32 v27, v27, v20
	v_fma_f16 v25, v22, s10, v25
	v_add_f16_e32 v23, v23, v20
	v_add_f16_e32 v20, v21, v20
	v_fma_f16 v21, v22, s10, v28
	v_fma_f16 v22, v22, s10, v26
	v_add_f16_e32 v26, v25, v27
	s_movk_i32 s12, 0x3a52
	v_sub_f16_e32 v25, v27, v25
	v_sub_f16_e32 v27, v20, v22
	v_add_f16_e32 v20, v22, v20
	v_sub_f16_e32 v22, v23, v21
	v_add_f16_e32 v21, v21, v23
	ds_write_b16 v24, v29
	ds_write_b16 v24, v22 offset:56
	ds_write_b16 v24, v27 offset:112
	;; [unrolled: 1-line block ×6, first 2 shown]
	s_waitcnt lgkmcnt(0)
	s_barrier
	s_and_saveexec_b64 s[14:15], vcc
	s_cbranch_execz .LBB0_13
; %bb.12:
	v_mul_u32_u24_e32 v20, 6, v4
	v_lshlrev_b32_e32 v24, 2, v20
	global_load_dwordx4 v[20:23], v24, s[8:9] offset:776
	ds_read_u16 v26, v5 offset:1372
	ds_read_u16 v27, v5 offset:1176
	;; [unrolled: 1-line block ×10, first 2 shown]
	global_load_dwordx2 v[24:25], v24, s[8:9] offset:792
	s_waitcnt vmcnt(1)
	v_lshrrev_b32_e32 v36, 16, v21
	v_mul_f16_e32 v42, v16, v21
	v_mul_f16_e32 v16, v16, v36
	v_lshrrev_b32_e32 v35, 16, v20
	v_lshrrev_b32_e32 v37, 16, v22
	;; [unrolled: 1-line block ×3, first 2 shown]
	s_waitcnt lgkmcnt(0)
	v_fma_f16 v45, v44, v21, -v16
	v_mul_u32_u24_e32 v16, 6, v0
	v_mul_f16_e32 v39, v18, v20
	v_mul_f16_e32 v40, v19, v23
	;; [unrolled: 1-line block ×6, first 2 shown]
	v_lshlrev_b32_e32 v46, 2, v16
	v_fma_f16 v43, v29, v20, -v18
	v_fma_f16 v22, v26, v22, -v17
	;; [unrolled: 1-line block ×3, first 2 shown]
	global_load_dwordx2 v[20:21], v46, s[8:9] offset:792
	global_load_dwordx4 v[16:19], v46, s[8:9] offset:776
	ds_read_u16 v54, v5 offset:196
	s_waitcnt vmcnt(0)
	v_lshrrev_b32_e32 v46, 16, v16
	v_mul_f16_e32 v47, v15, v16
	v_mul_f16_e32 v15, v15, v46
	v_fma_f16 v15, v30, v16, -v15
	v_fma_f16 v16, v29, v35, v39
	ds_read_u16 v29, v5 offset:2156
	ds_read_u16 v5, v5 offset:2548
	v_lshrrev_b32_e32 v48, 16, v18
	v_mul_f16_e32 v49, v14, v18
	v_mul_f16_e32 v14, v14, v48
	v_lshrrev_b32_e32 v50, 16, v19
	v_lshrrev_b32_e32 v52, 16, v17
	v_mul_f16_e32 v51, v12, v19
	v_mul_f16_e32 v12, v12, v50
	;; [unrolled: 1-line block ×4, first 2 shown]
	v_fma_f16 v14, v27, v18, -v14
	v_fma_f16 v18, v26, v37, v41
	v_fma_f16 v26, v30, v46, v47
	v_lshrrev_b32_e32 v30, 16, v25
	v_lshrrev_b32_e32 v35, 16, v24
	v_fma_f16 v12, v34, v19, -v12
	v_fma_f16 v13, v28, v17, -v13
	v_fma_f16 v17, v33, v38, v40
	v_fma_f16 v19, v44, v36, v42
	;; [unrolled: 1-line block ×3, first 2 shown]
	v_mul_f16_e32 v34, v10, v25
	v_mul_f16_e32 v36, v11, v24
	;; [unrolled: 1-line block ×4, first 2 shown]
	s_waitcnt lgkmcnt(0)
	v_fma_f16 v34, v5, v30, v34
	v_fma_f16 v30, v29, v35, v36
	v_fma_f16 v5, v5, v25, -v10
	v_fma_f16 v10, v29, v24, -v11
	v_sub_f16_e32 v11, v16, v34
	v_sub_f16_e32 v24, v17, v18
	v_add_f16_e32 v17, v17, v18
	v_sub_f16_e32 v18, v19, v30
	v_add_f16_e32 v25, v43, v5
	v_add_f16_e32 v29, v23, v22
	v_sub_f16_e32 v22, v23, v22
	v_add_f16_e32 v23, v45, v10
	v_add_f16_e32 v16, v16, v34
	;; [unrolled: 1-line block ×3, first 2 shown]
	v_sub_f16_e32 v30, v11, v24
	v_sub_f16_e32 v34, v24, v18
	v_add_f16_e32 v24, v24, v18
	v_add_f16_e32 v35, v25, v23
	v_sub_f16_e32 v5, v43, v5
	v_sub_f16_e32 v10, v45, v10
	;; [unrolled: 1-line block ×3, first 2 shown]
	v_add_f16_e32 v11, v11, v24
	v_sub_f16_e32 v24, v25, v29
	v_sub_f16_e32 v25, v23, v25
	;; [unrolled: 1-line block ×3, first 2 shown]
	v_add_f16_e32 v29, v29, v35
	v_add_f16_e32 v35, v16, v19
	;; [unrolled: 1-line block ×3, first 2 shown]
	v_sub_f16_e32 v36, v16, v17
	v_sub_f16_e32 v17, v17, v19
	;; [unrolled: 1-line block ×5, first 2 shown]
	v_add_f16_e32 v22, v22, v10
	v_add_f16_e32 v22, v5, v22
	v_sub_f16_e32 v5, v10, v5
	v_mul_f16_e32 v10, 0x2b26, v23
	v_mul_f16_e32 v23, 0x3a52, v24
	v_fma_f16 v24, v24, s12, v10
	v_fma_f16 v23, v25, s1, -v23
	v_fma_f16 v10, v25, s0, -v10
	v_add_f16_e32 v25, v54, v29
	v_fma_f16 v29, v29, s6, v25
	v_add_f16_e32 v24, v24, v29
	v_add_f16_e32 v23, v23, v29
	;; [unrolled: 1-line block ×3, first 2 shown]
	v_mul_f16_e32 v29, 0x3846, v34
	v_mul_f16_e32 v34, 0xbb00, v18
	v_fma_f16 v34, v30, s7, -v34
	v_fma_f16 v30, v30, s5, v29
	v_fma_f16 v18, v18, s4, -v29
	v_fma_f16 v29, v11, s10, v30
	v_fma_f16 v30, v11, s10, v34
	;; [unrolled: 1-line block ×3, first 2 shown]
	v_mul_f16_e32 v18, 0x3846, v37
	v_mul_f16_e32 v34, 0xbb00, v5
	v_fma_f16 v34, v19, s7, -v34
	v_fma_f16 v19, v19, s5, v18
	v_fma_f16 v5, v5, s4, -v18
	v_fma_f16 v18, v22, s10, v19
	v_fma_f16 v19, v22, s10, v34
	;; [unrolled: 1-line block ×3, first 2 shown]
	v_mul_f16_e32 v17, 0x2b26, v17
	v_mul_f16_e32 v22, 0x3a52, v36
	v_add_f16_e32 v9, v9, v35
	v_fma_f16 v34, v36, s12, v17
	v_fma_f16 v22, v16, s1, -v22
	v_fma_f16 v16, v16, s0, -v17
	v_fma_f16 v17, v35, s6, v9
	v_add_f16_e32 v34, v34, v17
	v_add_f16_e32 v22, v22, v17
	;; [unrolled: 1-line block ×3, first 2 shown]
	v_sub_f16_e32 v17, v10, v11
	v_add_f16_e32 v10, v11, v10
	v_add_f16_e32 v11, v5, v16
	v_sub_f16_e32 v16, v16, v5
	v_add_f16_e32 v35, v30, v23
	v_sub_f16_e32 v23, v23, v30
	v_sub_f16_e32 v30, v22, v19
	v_add_f16_e32 v19, v19, v22
	v_add_f16_e32 v22, v29, v24
	v_sub_f16_e32 v24, v24, v29
	v_sub_f16_e32 v29, v34, v18
	v_add_f16_e32 v18, v18, v34
	v_fma_f16 v5, v28, v52, v53
	v_lshrrev_b32_e32 v28, 16, v21
	v_mul_f16_e32 v34, v8, v21
	v_fma_f16 v34, v31, v28, v34
	v_mul_f16_e32 v8, v8, v28
	v_lshrrev_b32_e32 v28, 16, v20
	v_fma_f16 v8, v31, v21, -v8
	v_mul_f16_e32 v21, v7, v20
	v_mul_f16_e32 v7, v7, v28
	v_fma_f16 v27, v27, v48, v49
	v_fma_f16 v7, v32, v20, -v7
	v_fma_f16 v21, v32, v28, v21
	ds_read_u16 v1, v1
	v_sub_f16_e32 v31, v33, v27
	v_sub_f16_e32 v32, v5, v21
	v_add_f16_e32 v27, v33, v27
	v_add_f16_e32 v33, v15, v8
	;; [unrolled: 1-line block ×4, first 2 shown]
	v_sub_f16_e32 v12, v12, v14
	v_add_f16_e32 v14, v13, v7
	v_sub_f16_e32 v20, v26, v34
	v_add_f16_e32 v26, v26, v34
	v_sub_f16_e32 v7, v13, v7
	v_add_f16_e32 v13, v33, v14
	v_sub_f16_e32 v28, v20, v31
	v_sub_f16_e32 v34, v31, v32
	v_add_f16_e32 v31, v31, v32
	v_sub_f16_e32 v8, v15, v8
	v_sub_f16_e32 v15, v33, v21
	v_add_f16_e32 v13, v21, v13
	;; [unrolled: 3-line block ×3, first 2 shown]
	v_add_f16_e32 v31, v20, v31
	v_sub_f16_e32 v20, v32, v20
	v_sub_f16_e32 v32, v26, v27
	v_add_f16_e32 v33, v27, v33
	v_sub_f16_e32 v27, v27, v5
	v_sub_f16_e32 v5, v5, v26
	;; [unrolled: 1-line block ×4, first 2 shown]
	v_add_f16_e32 v12, v12, v7
	v_add_f16_e32 v12, v8, v12
	v_sub_f16_e32 v7, v7, v8
	v_mul_f16_e32 v8, 0x2b26, v21
	v_mul_f16_e32 v21, 0x3a52, v15
	v_fma_f16 v15, v15, s12, v8
	v_fma_f16 v21, v14, s1, -v21
	v_fma_f16 v8, v14, s0, -v8
	v_mul_f16_e32 v14, 0x3846, v34
	s_waitcnt lgkmcnt(0)
	v_add_f16_e32 v34, v1, v13
	v_fma_f16 v1, v13, s6, v34
	v_add_f16_e32 v13, v15, v1
	v_add_f16_e32 v15, v21, v1
	;; [unrolled: 1-line block ×3, first 2 shown]
	v_mul_f16_e32 v8, 0xbb00, v20
	v_fma_f16 v8, v28, s7, -v8
	v_fma_f16 v21, v28, s5, v14
	v_fma_f16 v14, v20, s4, -v14
	v_fma_f16 v21, v31, s10, v21
	v_mul_f16_e32 v28, 0x3846, v36
	v_fma_f16 v8, v31, s10, v8
	v_fma_f16 v14, v31, s10, v14
	v_mul_f16_e32 v31, 0xbb00, v7
	v_fma_f16 v31, v26, s7, -v31
	v_fma_f16 v26, v26, s5, v28
	v_fma_f16 v7, v7, s4, -v28
	v_mul_f16_e32 v28, 0x3a52, v32
	v_mul_f16_e32 v27, 0x2b26, v27
	v_add_f16_e32 v6, v6, v33
	v_fma_f16 v32, v32, s12, v27
	v_fma_f16 v33, v33, s6, v6
	v_fma_f16 v28, v5, s1, -v28
	v_fma_f16 v5, v5, s0, -v27
	v_add_f16_e32 v32, v32, v33
	v_fma_f16 v26, v12, s10, v26
	v_fma_f16 v31, v12, s10, v31
	v_fma_f16 v7, v12, s10, v7
	v_add_f16_e32 v28, v28, v33
	v_add_f16_e32 v5, v5, v33
	;; [unrolled: 1-line block ×3, first 2 shown]
	v_sub_f16_e32 v12, v32, v26
	v_add_f16_e32 v27, v8, v15
	v_sub_f16_e32 v33, v1, v14
	v_add_f16_e32 v14, v14, v1
	v_add_f16_e32 v36, v7, v5
	v_sub_f16_e32 v5, v5, v7
	v_sub_f16_e32 v7, v28, v31
	;; [unrolled: 1-line block ×3, first 2 shown]
	v_add_f16_e32 v15, v31, v28
	v_sub_f16_e32 v13, v13, v21
	v_add_f16_e32 v21, v26, v32
	v_mov_b32_e32 v1, 0
	v_mov_b32_e32 v26, s3
	v_add_co_u32_e32 v28, vcc, s2, v2
	v_addc_co_u32_e32 v26, vcc, v26, v3, vcc
	v_lshlrev_b64 v[2:3], 2, v[0:1]
	v_pack_b32_f16 v0, v6, v34
	v_add_co_u32_e32 v2, vcc, v28, v2
	v_addc_co_u32_e32 v3, vcc, v26, v3, vcc
	global_store_dword v[2:3], v0, off
	v_pack_b32_f16 v0, v21, v13
	global_store_dword v[2:3], v0, off offset:784
	v_pack_b32_f16 v0, v15, v8
	s_mov_b32 s1, 0x5397829d
	global_store_dword v[2:3], v0, off offset:1568
	v_pack_b32_f16 v0, v5, v14
	v_mul_hi_u32 v6, v4, s1
	global_store_dword v[2:3], v0, off offset:2352
	v_pack_b32_f16 v0, v36, v33
	s_movk_i32 s0, 0x1000
	global_store_dword v[2:3], v0, off offset:3136
	v_pack_b32_f16 v0, v7, v27
	v_add_co_u32_e32 v4, vcc, s0, v2
	global_store_dword v[2:3], v0, off offset:3920
	v_pack_b32_f16 v0, v12, v20
	v_addc_co_u32_e32 v5, vcc, 0, v3, vcc
	global_store_dword v[4:5], v0, off offset:608
	v_lshrrev_b32_e32 v0, 6, v6
	v_mul_u32_u24_e32 v0, 0x498, v0
	v_lshlrev_b64 v[0:1], 2, v[0:1]
	v_pack_b32_f16 v4, v9, v25
	v_add_co_u32_e32 v0, vcc, v2, v0
	v_addc_co_u32_e32 v1, vcc, v3, v1, vcc
	global_store_dword v[0:1], v4, off offset:392
	v_pack_b32_f16 v4, v18, v24
	global_store_dword v[0:1], v4, off offset:1176
	v_pack_b32_f16 v4, v19, v23
	v_add_co_u32_e32 v2, vcc, s11, v0
	global_store_dword v[0:1], v4, off offset:1960
	v_pack_b32_f16 v4, v16, v10
	v_addc_co_u32_e32 v3, vcc, 0, v1, vcc
	global_store_dword v[0:1], v4, off offset:2744
	v_pack_b32_f16 v4, v11, v17
	global_store_dword v[0:1], v4, off offset:3528
	v_pack_b32_f16 v4, v30, v35
	v_add_co_u32_e32 v0, vcc, 0x1000, v0
	global_store_dword v[2:3], v4, off offset:3920
	v_pack_b32_f16 v2, v29, v22
	v_addc_co_u32_e32 v1, vcc, 0, v1, vcc
	global_store_dword v[0:1], v2, off offset:1000
.LBB0_13:
	s_endpgm
	.section	.rodata,"a",@progbits
	.p2align	6, 0x0
	.amdhsa_kernel fft_rtc_back_len1372_factors_2_2_7_7_7_wgs_196_tpt_98_halfLds_half_ip_CI_unitstride_sbrr_dirReg
		.amdhsa_group_segment_fixed_size 0
		.amdhsa_private_segment_fixed_size 0
		.amdhsa_kernarg_size 88
		.amdhsa_user_sgpr_count 6
		.amdhsa_user_sgpr_private_segment_buffer 1
		.amdhsa_user_sgpr_dispatch_ptr 0
		.amdhsa_user_sgpr_queue_ptr 0
		.amdhsa_user_sgpr_kernarg_segment_ptr 1
		.amdhsa_user_sgpr_dispatch_id 0
		.amdhsa_user_sgpr_flat_scratch_init 0
		.amdhsa_user_sgpr_private_segment_size 0
		.amdhsa_uses_dynamic_stack 0
		.amdhsa_system_sgpr_private_segment_wavefront_offset 0
		.amdhsa_system_sgpr_workgroup_id_x 1
		.amdhsa_system_sgpr_workgroup_id_y 0
		.amdhsa_system_sgpr_workgroup_id_z 0
		.amdhsa_system_sgpr_workgroup_info 0
		.amdhsa_system_vgpr_workitem_id 0
		.amdhsa_next_free_vgpr 55
		.amdhsa_next_free_sgpr 22
		.amdhsa_reserve_vcc 1
		.amdhsa_reserve_flat_scratch 0
		.amdhsa_float_round_mode_32 0
		.amdhsa_float_round_mode_16_64 0
		.amdhsa_float_denorm_mode_32 3
		.amdhsa_float_denorm_mode_16_64 3
		.amdhsa_dx10_clamp 1
		.amdhsa_ieee_mode 1
		.amdhsa_fp16_overflow 0
		.amdhsa_exception_fp_ieee_invalid_op 0
		.amdhsa_exception_fp_denorm_src 0
		.amdhsa_exception_fp_ieee_div_zero 0
		.amdhsa_exception_fp_ieee_overflow 0
		.amdhsa_exception_fp_ieee_underflow 0
		.amdhsa_exception_fp_ieee_inexact 0
		.amdhsa_exception_int_div_zero 0
	.end_amdhsa_kernel
	.text
.Lfunc_end0:
	.size	fft_rtc_back_len1372_factors_2_2_7_7_7_wgs_196_tpt_98_halfLds_half_ip_CI_unitstride_sbrr_dirReg, .Lfunc_end0-fft_rtc_back_len1372_factors_2_2_7_7_7_wgs_196_tpt_98_halfLds_half_ip_CI_unitstride_sbrr_dirReg
                                        ; -- End function
	.section	.AMDGPU.csdata,"",@progbits
; Kernel info:
; codeLenInByte = 8740
; NumSgprs: 26
; NumVgprs: 55
; ScratchSize: 0
; MemoryBound: 0
; FloatMode: 240
; IeeeMode: 1
; LDSByteSize: 0 bytes/workgroup (compile time only)
; SGPRBlocks: 3
; VGPRBlocks: 13
; NumSGPRsForWavesPerEU: 26
; NumVGPRsForWavesPerEU: 55
; Occupancy: 4
; WaveLimiterHint : 1
; COMPUTE_PGM_RSRC2:SCRATCH_EN: 0
; COMPUTE_PGM_RSRC2:USER_SGPR: 6
; COMPUTE_PGM_RSRC2:TRAP_HANDLER: 0
; COMPUTE_PGM_RSRC2:TGID_X_EN: 1
; COMPUTE_PGM_RSRC2:TGID_Y_EN: 0
; COMPUTE_PGM_RSRC2:TGID_Z_EN: 0
; COMPUTE_PGM_RSRC2:TIDIG_COMP_CNT: 0
	.type	__hip_cuid_6dfc933734508944,@object ; @__hip_cuid_6dfc933734508944
	.section	.bss,"aw",@nobits
	.globl	__hip_cuid_6dfc933734508944
__hip_cuid_6dfc933734508944:
	.byte	0                               ; 0x0
	.size	__hip_cuid_6dfc933734508944, 1

	.ident	"AMD clang version 19.0.0git (https://github.com/RadeonOpenCompute/llvm-project roc-6.4.0 25133 c7fe45cf4b819c5991fe208aaa96edf142730f1d)"
	.section	".note.GNU-stack","",@progbits
	.addrsig
	.addrsig_sym __hip_cuid_6dfc933734508944
	.amdgpu_metadata
---
amdhsa.kernels:
  - .args:
      - .actual_access:  read_only
        .address_space:  global
        .offset:         0
        .size:           8
        .value_kind:     global_buffer
      - .offset:         8
        .size:           8
        .value_kind:     by_value
      - .actual_access:  read_only
        .address_space:  global
        .offset:         16
        .size:           8
        .value_kind:     global_buffer
      - .actual_access:  read_only
        .address_space:  global
        .offset:         24
        .size:           8
        .value_kind:     global_buffer
      - .offset:         32
        .size:           8
        .value_kind:     by_value
      - .actual_access:  read_only
        .address_space:  global
        .offset:         40
        .size:           8
        .value_kind:     global_buffer
      - .actual_access:  read_only
        .address_space:  global
        .offset:         48
        .size:           8
        .value_kind:     global_buffer
      - .offset:         56
        .size:           4
        .value_kind:     by_value
      - .actual_access:  read_only
        .address_space:  global
        .offset:         64
        .size:           8
        .value_kind:     global_buffer
      - .actual_access:  read_only
        .address_space:  global
        .offset:         72
        .size:           8
        .value_kind:     global_buffer
      - .address_space:  global
        .offset:         80
        .size:           8
        .value_kind:     global_buffer
    .group_segment_fixed_size: 0
    .kernarg_segment_align: 8
    .kernarg_segment_size: 88
    .language:       OpenCL C
    .language_version:
      - 2
      - 0
    .max_flat_workgroup_size: 196
    .name:           fft_rtc_back_len1372_factors_2_2_7_7_7_wgs_196_tpt_98_halfLds_half_ip_CI_unitstride_sbrr_dirReg
    .private_segment_fixed_size: 0
    .sgpr_count:     26
    .sgpr_spill_count: 0
    .symbol:         fft_rtc_back_len1372_factors_2_2_7_7_7_wgs_196_tpt_98_halfLds_half_ip_CI_unitstride_sbrr_dirReg.kd
    .uniform_work_group_size: 1
    .uses_dynamic_stack: false
    .vgpr_count:     55
    .vgpr_spill_count: 0
    .wavefront_size: 64
amdhsa.target:   amdgcn-amd-amdhsa--gfx906
amdhsa.version:
  - 1
  - 2
...

	.end_amdgpu_metadata
